;; amdgpu-corpus repo=ROCm/rocFFT kind=compiled arch=gfx906 opt=O3
	.text
	.amdgcn_target "amdgcn-amd-amdhsa--gfx906"
	.amdhsa_code_object_version 6
	.protected	fft_rtc_back_len189_factors_7_3_3_3_wgs_63_tpt_21_half_op_CI_CI_unitstride_sbrr_dirReg ; -- Begin function fft_rtc_back_len189_factors_7_3_3_3_wgs_63_tpt_21_half_op_CI_CI_unitstride_sbrr_dirReg
	.globl	fft_rtc_back_len189_factors_7_3_3_3_wgs_63_tpt_21_half_op_CI_CI_unitstride_sbrr_dirReg
	.p2align	8
	.type	fft_rtc_back_len189_factors_7_3_3_3_wgs_63_tpt_21_half_op_CI_CI_unitstride_sbrr_dirReg,@function
fft_rtc_back_len189_factors_7_3_3_3_wgs_63_tpt_21_half_op_CI_CI_unitstride_sbrr_dirReg: ; @fft_rtc_back_len189_factors_7_3_3_3_wgs_63_tpt_21_half_op_CI_CI_unitstride_sbrr_dirReg
; %bb.0:
	v_mul_u32_u24_e32 v1, 0xc31, v0
	s_load_dwordx4 s[8:11], s[4:5], 0x58
	s_load_dwordx4 s[12:15], s[4:5], 0x0
	;; [unrolled: 1-line block ×3, first 2 shown]
	v_lshrrev_b32_e32 v1, 16, v1
	v_mad_u64_u32 v[8:9], s[0:1], s6, 3, v[1:2]
	v_mov_b32_e32 v10, 0
	s_waitcnt lgkmcnt(0)
	v_cmp_lt_u64_e64 s[0:1], s[14:15], 2
	v_mov_b32_e32 v6, 0
	v_mov_b32_e32 v9, v10
	;; [unrolled: 1-line block ×5, first 2 shown]
	s_and_b64 vcc, exec, s[0:1]
	v_mov_b32_e32 v2, v7
	v_mov_b32_e32 v4, v9
	s_cbranch_vccnz .LBB0_8
; %bb.1:
	s_load_dwordx2 s[0:1], s[4:5], 0x10
	s_add_u32 s2, s18, 8
	s_addc_u32 s3, s19, 0
	s_add_u32 s6, s16, 8
	s_addc_u32 s7, s17, 0
	v_mov_b32_e32 v6, 0
	s_waitcnt lgkmcnt(0)
	s_add_u32 s20, s0, 8
	v_mov_b32_e32 v7, 0
	v_mov_b32_e32 v1, v6
	;; [unrolled: 1-line block ×3, first 2 shown]
	s_addc_u32 s21, s1, 0
	s_mov_b64 s[22:23], 1
	v_mov_b32_e32 v2, v7
	v_mov_b32_e32 v12, v8
.LBB0_2:                                ; =>This Inner Loop Header: Depth=1
	s_load_dwordx2 s[24:25], s[20:21], 0x0
                                        ; implicit-def: $vgpr3_vgpr4
	s_waitcnt lgkmcnt(0)
	v_or_b32_e32 v11, s25, v13
	v_cmp_ne_u64_e32 vcc, 0, v[10:11]
	s_and_saveexec_b64 s[0:1], vcc
	s_xor_b64 s[26:27], exec, s[0:1]
	s_cbranch_execz .LBB0_4
; %bb.3:                                ;   in Loop: Header=BB0_2 Depth=1
	v_cvt_f32_u32_e32 v3, s24
	v_cvt_f32_u32_e32 v4, s25
	s_sub_u32 s0, 0, s24
	s_subb_u32 s1, 0, s25
	v_mac_f32_e32 v3, 0x4f800000, v4
	v_rcp_f32_e32 v3, v3
	v_mul_f32_e32 v3, 0x5f7ffffc, v3
	v_mul_f32_e32 v4, 0x2f800000, v3
	v_trunc_f32_e32 v4, v4
	v_mac_f32_e32 v3, 0xcf800000, v4
	v_cvt_u32_f32_e32 v4, v4
	v_cvt_u32_f32_e32 v3, v3
	v_mul_lo_u32 v5, s0, v4
	v_mul_hi_u32 v9, s0, v3
	v_mul_lo_u32 v14, s1, v3
	v_mul_lo_u32 v11, s0, v3
	v_add_u32_e32 v5, v9, v5
	v_add_u32_e32 v5, v5, v14
	v_mul_hi_u32 v9, v3, v11
	v_mul_lo_u32 v14, v3, v5
	v_mul_hi_u32 v16, v3, v5
	v_mul_hi_u32 v15, v4, v11
	v_mul_lo_u32 v11, v4, v11
	v_mul_hi_u32 v17, v4, v5
	v_add_co_u32_e32 v9, vcc, v9, v14
	v_addc_co_u32_e32 v14, vcc, 0, v16, vcc
	v_mul_lo_u32 v5, v4, v5
	v_add_co_u32_e32 v9, vcc, v9, v11
	v_addc_co_u32_e32 v9, vcc, v14, v15, vcc
	v_addc_co_u32_e32 v11, vcc, 0, v17, vcc
	v_add_co_u32_e32 v5, vcc, v9, v5
	v_addc_co_u32_e32 v9, vcc, 0, v11, vcc
	v_add_co_u32_e32 v3, vcc, v3, v5
	v_addc_co_u32_e32 v4, vcc, v4, v9, vcc
	v_mul_lo_u32 v5, s0, v4
	v_mul_hi_u32 v9, s0, v3
	v_mul_lo_u32 v11, s1, v3
	v_mul_lo_u32 v14, s0, v3
	v_add_u32_e32 v5, v9, v5
	v_add_u32_e32 v5, v5, v11
	v_mul_lo_u32 v15, v3, v5
	v_mul_hi_u32 v16, v3, v14
	v_mul_hi_u32 v17, v3, v5
	;; [unrolled: 1-line block ×3, first 2 shown]
	v_mul_lo_u32 v14, v4, v14
	v_mul_hi_u32 v9, v4, v5
	v_add_co_u32_e32 v15, vcc, v16, v15
	v_addc_co_u32_e32 v16, vcc, 0, v17, vcc
	v_mul_lo_u32 v5, v4, v5
	v_add_co_u32_e32 v14, vcc, v15, v14
	v_addc_co_u32_e32 v11, vcc, v16, v11, vcc
	v_addc_co_u32_e32 v9, vcc, 0, v9, vcc
	v_add_co_u32_e32 v5, vcc, v11, v5
	v_addc_co_u32_e32 v9, vcc, 0, v9, vcc
	v_add_co_u32_e32 v5, vcc, v3, v5
	v_addc_co_u32_e32 v9, vcc, v4, v9, vcc
	v_mad_u64_u32 v[3:4], s[0:1], v12, v9, 0
	v_mul_hi_u32 v11, v12, v5
	v_mad_u64_u32 v[14:15], s[0:1], v13, v9, 0
	v_add_co_u32_e32 v11, vcc, v11, v3
	v_addc_co_u32_e32 v16, vcc, 0, v4, vcc
	v_mad_u64_u32 v[3:4], s[0:1], v13, v5, 0
	v_add_co_u32_e32 v3, vcc, v11, v3
	v_addc_co_u32_e32 v3, vcc, v16, v4, vcc
	v_addc_co_u32_e32 v4, vcc, 0, v15, vcc
	v_add_co_u32_e32 v5, vcc, v3, v14
	v_addc_co_u32_e32 v9, vcc, 0, v4, vcc
	v_mul_lo_u32 v11, s25, v5
	v_mul_lo_u32 v14, s24, v9
	v_mad_u64_u32 v[3:4], s[0:1], s24, v5, 0
	v_add3_u32 v4, v4, v14, v11
	v_sub_u32_e32 v11, v13, v4
	v_mov_b32_e32 v14, s25
	v_sub_co_u32_e32 v3, vcc, v12, v3
	v_subb_co_u32_e64 v11, s[0:1], v11, v14, vcc
	v_subrev_co_u32_e64 v14, s[0:1], s24, v3
	v_subbrev_co_u32_e64 v11, s[0:1], 0, v11, s[0:1]
	v_cmp_le_u32_e64 s[0:1], s25, v11
	v_cndmask_b32_e64 v15, 0, -1, s[0:1]
	v_cmp_le_u32_e64 s[0:1], s24, v14
	v_cndmask_b32_e64 v14, 0, -1, s[0:1]
	v_cmp_eq_u32_e64 s[0:1], s25, v11
	v_cndmask_b32_e64 v11, v15, v14, s[0:1]
	v_add_co_u32_e64 v14, s[0:1], 2, v5
	v_addc_co_u32_e64 v15, s[0:1], 0, v9, s[0:1]
	v_add_co_u32_e64 v16, s[0:1], 1, v5
	v_addc_co_u32_e64 v17, s[0:1], 0, v9, s[0:1]
	v_subb_co_u32_e32 v4, vcc, v13, v4, vcc
	v_cmp_ne_u32_e64 s[0:1], 0, v11
	v_cmp_le_u32_e32 vcc, s25, v4
	v_cndmask_b32_e64 v11, v17, v15, s[0:1]
	v_cndmask_b32_e64 v15, 0, -1, vcc
	v_cmp_le_u32_e32 vcc, s24, v3
	v_cndmask_b32_e64 v3, 0, -1, vcc
	v_cmp_eq_u32_e32 vcc, s25, v4
	v_cndmask_b32_e32 v3, v15, v3, vcc
	v_cmp_ne_u32_e32 vcc, 0, v3
	v_cndmask_b32_e64 v3, v16, v14, s[0:1]
	v_cndmask_b32_e32 v4, v9, v11, vcc
	v_cndmask_b32_e32 v3, v5, v3, vcc
.LBB0_4:                                ;   in Loop: Header=BB0_2 Depth=1
	s_andn2_saveexec_b64 s[0:1], s[26:27]
	s_cbranch_execz .LBB0_6
; %bb.5:                                ;   in Loop: Header=BB0_2 Depth=1
	v_cvt_f32_u32_e32 v3, s24
	s_sub_i32 s26, 0, s24
	v_rcp_iflag_f32_e32 v3, v3
	v_mul_f32_e32 v3, 0x4f7ffffe, v3
	v_cvt_u32_f32_e32 v3, v3
	v_mul_lo_u32 v4, s26, v3
	v_mul_hi_u32 v4, v3, v4
	v_add_u32_e32 v3, v3, v4
	v_mul_hi_u32 v3, v12, v3
	v_mul_lo_u32 v4, v3, s24
	v_add_u32_e32 v5, 1, v3
	v_sub_u32_e32 v4, v12, v4
	v_subrev_u32_e32 v9, s24, v4
	v_cmp_le_u32_e32 vcc, s24, v4
	v_cndmask_b32_e32 v4, v4, v9, vcc
	v_cndmask_b32_e32 v3, v3, v5, vcc
	v_add_u32_e32 v5, 1, v3
	v_cmp_le_u32_e32 vcc, s24, v4
	v_cndmask_b32_e32 v3, v3, v5, vcc
	v_mov_b32_e32 v4, v10
.LBB0_6:                                ;   in Loop: Header=BB0_2 Depth=1
	s_or_b64 exec, exec, s[0:1]
	v_mul_lo_u32 v5, v4, s24
	v_mul_lo_u32 v9, v3, s25
	v_mad_u64_u32 v[14:15], s[0:1], v3, s24, 0
	s_load_dwordx2 s[0:1], s[6:7], 0x0
	s_load_dwordx2 s[24:25], s[2:3], 0x0
	v_add3_u32 v5, v15, v9, v5
	v_sub_co_u32_e32 v9, vcc, v12, v14
	v_subb_co_u32_e32 v5, vcc, v13, v5, vcc
	s_waitcnt lgkmcnt(0)
	v_mul_lo_u32 v11, s0, v5
	v_mul_lo_u32 v12, s1, v9
	v_mad_u64_u32 v[6:7], s[0:1], s0, v9, v[6:7]
	s_add_u32 s22, s22, 1
	s_addc_u32 s23, s23, 0
	s_add_u32 s2, s2, 8
	v_mul_lo_u32 v5, s24, v5
	v_mul_lo_u32 v13, s25, v9
	v_mad_u64_u32 v[1:2], s[0:1], s24, v9, v[1:2]
	v_add3_u32 v7, v12, v7, v11
	s_addc_u32 s3, s3, 0
	v_mov_b32_e32 v11, s14
	s_add_u32 s6, s6, 8
	v_mov_b32_e32 v12, s15
	s_addc_u32 s7, s7, 0
	v_cmp_ge_u64_e32 vcc, s[22:23], v[11:12]
	s_add_u32 s20, s20, 8
	v_add3_u32 v2, v13, v2, v5
	s_addc_u32 s21, s21, 0
	s_cbranch_vccnz .LBB0_8
; %bb.7:                                ;   in Loop: Header=BB0_2 Depth=1
	v_mov_b32_e32 v13, v4
	v_mov_b32_e32 v12, v3
	s_branch .LBB0_2
.LBB0_8:
	s_mov_b32 s2, 0xaaaaaaab
	s_load_dwordx2 s[0:1], s[4:5], 0x28
	v_mul_hi_u32 v5, v8, s2
	s_lshl_b64 s[6:7], s[14:15], 3
	s_add_u32 s2, s18, s6
	s_addc_u32 s3, s19, s7
	v_lshrrev_b32_e32 v5, 1, v5
	v_lshl_add_u32 v5, v5, 1, v5
	s_waitcnt lgkmcnt(0)
	v_cmp_gt_u64_e32 vcc, s[0:1], v[3:4]
	v_cmp_le_u64_e64 s[0:1], s[0:1], v[3:4]
	v_sub_u32_e32 v8, v8, v5
                                        ; implicit-def: $vgpr5
                                        ; implicit-def: $vgpr19
	s_and_saveexec_b64 s[4:5], s[0:1]
	s_xor_b64 s[0:1], exec, s[4:5]
; %bb.9:
	s_mov_b32 s4, 0xc30c30d
	v_mul_hi_u32 v5, v0, s4
                                        ; implicit-def: $vgpr6_vgpr7
	v_mul_u32_u24_e32 v5, 21, v5
	v_sub_u32_e32 v5, v0, v5
	v_add_u32_e32 v19, 21, v5
                                        ; implicit-def: $vgpr0
; %bb.10:
	s_or_saveexec_b64 s[4:5], s[0:1]
	v_mul_u32_u24_e32 v8, 0xbd, v8
	v_lshlrev_b32_e32 v20, 2, v8
	s_xor_b64 exec, exec, s[4:5]
	s_cbranch_execz .LBB0_12
; %bb.11:
	s_add_u32 s0, s16, s6
	s_addc_u32 s1, s17, s7
	s_load_dwordx2 s[0:1], s[0:1], 0x0
	s_mov_b32 s6, 0xc30c30d
	v_mul_hi_u32 v5, v0, s6
	v_lshlrev_b64 v[6:7], 2, v[6:7]
	s_waitcnt lgkmcnt(0)
	v_mul_lo_u32 v10, s1, v3
	v_mul_lo_u32 v11, s0, v4
	v_mad_u64_u32 v[8:9], s[0:1], s0, v3, 0
	v_mul_u32_u24_e32 v5, 21, v5
	v_sub_u32_e32 v5, v0, v5
	v_add3_u32 v9, v9, v11, v10
	v_lshlrev_b64 v[8:9], 2, v[8:9]
	v_mov_b32_e32 v0, s9
	v_add_co_u32_e64 v8, s[0:1], s8, v8
	v_addc_co_u32_e64 v0, s[0:1], v0, v9, s[0:1]
	v_add_co_u32_e64 v6, s[0:1], v8, v6
	v_addc_co_u32_e64 v0, s[0:1], v0, v7, s[0:1]
	v_lshlrev_b32_e32 v8, 2, v5
	v_add_co_u32_e64 v6, s[0:1], v6, v8
	v_addc_co_u32_e64 v7, s[0:1], 0, v0, s[0:1]
	global_load_dword v0, v[6:7], off
	global_load_dword v9, v[6:7], off offset:84
	global_load_dword v10, v[6:7], off offset:168
	global_load_dword v11, v[6:7], off offset:252
	global_load_dword v12, v[6:7], off offset:336
	global_load_dword v13, v[6:7], off offset:420
	global_load_dword v14, v[6:7], off offset:504
	global_load_dword v15, v[6:7], off offset:588
	global_load_dword v16, v[6:7], off offset:672
	v_add_u32_e32 v19, 21, v5
	v_add3_u32 v6, 0, v20, v8
	s_waitcnt vmcnt(7)
	ds_write2_b32 v6, v0, v9 offset1:21
	s_waitcnt vmcnt(5)
	ds_write2_b32 v6, v10, v11 offset0:42 offset1:63
	s_waitcnt vmcnt(3)
	ds_write2_b32 v6, v12, v13 offset0:84 offset1:105
	;; [unrolled: 2-line block ×3, first 2 shown]
	s_waitcnt vmcnt(0)
	ds_write_b32 v6, v16 offset:672
.LBB0_12:
	s_or_b64 exec, exec, s[4:5]
	v_lshlrev_b32_e32 v21, 2, v5
	v_add_u32_e32 v0, 0, v21
	v_add_u32_e32 v18, v0, v20
	s_load_dwordx2 s[2:3], s[2:3], 0x0
	s_waitcnt lgkmcnt(0)
	; wave barrier
	s_waitcnt lgkmcnt(0)
	ds_read2_b32 v[16:17], v18 offset0:21 offset1:27
	ds_read2_b32 v[8:9], v18 offset0:48 offset1:54
	;; [unrolled: 1-line block ×6, first 2 shown]
	v_add_u32_e32 v0, 0, v20
	v_add_u32_e32 v21, v0, v21
	ds_read_b32 v25, v21
	s_waitcnt lgkmcnt(3)
	v_pk_add_f16 v23, v17, v11
	s_waitcnt lgkmcnt(2)
	v_pk_add_f16 v24, v9, v13
	;; [unrolled: 2-line block ×3, first 2 shown]
	v_pk_add_f16 v9, v9, v13 neg_lo:[0,1] neg_hi:[0,1]
	v_pk_add_f16 v7, v15, v7 neg_lo:[0,1] neg_hi:[0,1]
	v_pk_add_f16 v22, v24, v23
	v_pk_add_f16 v11, v17, v11 neg_lo:[0,1] neg_hi:[0,1]
	v_pk_add_f16 v13, v7, v9
	v_pk_add_f16 v27, v26, v22
	ds_read_b32 v22, v18 offset:732
	v_pk_add_f16 v28, v24, v23 neg_lo:[0,1] neg_hi:[0,1]
	v_pk_add_f16 v23, v23, v26 neg_lo:[0,1] neg_hi:[0,1]
	v_pk_add_f16 v13, v13, v11
	v_pk_add_f16 v15, v11, v7 neg_lo:[0,1] neg_hi:[0,1]
	v_pk_add_f16 v11, v9, v11 neg_lo:[0,1] neg_hi:[0,1]
	s_movk_i32 s0, 0x3a52
	s_movk_i32 s6, 0x39e0
	s_mov_b32 s7, 0xbb00
	s_waitcnt lgkmcnt(1)
	v_pk_add_f16 v25, v25, v27
	v_pk_mul_f16 v17, v23, s0 op_sel_hi:[1,0]
	v_pk_mul_f16 v23, v28, s6 op_sel_hi:[1,0]
	s_mov_b32 s0, 0xb574
	v_pk_mul_f16 v11, v11, s7 op_sel_hi:[1,0]
	s_mov_b32 s14, 0xbcab
	v_pk_add_f16 v24, v26, v24 neg_lo:[0,1] neg_hi:[0,1]
	v_pk_add_f16 v7, v7, v9 neg_lo:[0,1] neg_hi:[0,1]
	s_movk_i32 s1, 0x2b26
	s_movk_i32 s4, 0x3846
	v_pk_fma_f16 v27, v27, s14, v25 op_sel_hi:[1,0,1]
	v_pk_add_f16 v28, v17, v23 op_sel:[1,1] op_sel_hi:[0,0] neg_lo:[1,1] neg_hi:[1,1]
	s_mov_b32 s8, 0xb70e
	v_pk_fma_f16 v29, v15, s0, v11 op_sel_hi:[1,0,1] neg_lo:[1,0,1] neg_hi:[1,0,1]
	v_pk_fma_f16 v9, v24, s1, v23 op_sel_hi:[1,0,1] neg_lo:[1,0,0] neg_hi:[1,0,0]
	;; [unrolled: 1-line block ×3, first 2 shown]
	v_pk_add_f16 v28, v28, v27 op_sel:[0,1] op_sel_hi:[1,0]
	v_pk_fma_f16 v29, v13, s8, v29 op_sel_hi:[1,0,1]
	v_pk_add_f16 v9, v9, v27
	v_pk_fma_f16 v11, v13, s8, v11 op_sel_hi:[1,0,1]
	v_pk_add_f16 v30, v28, v29
	v_pk_add_f16 v28, v28, v29 neg_lo:[0,1] neg_hi:[0,1]
	v_pk_add_f16 v23, v9, v11 op_sel:[0,1] op_sel_hi:[1,0] neg_lo:[0,1] neg_hi:[0,1]
	v_pk_add_f16 v9, v9, v11 op_sel:[0,1] op_sel_hi:[1,0]
	s_mov_b32 s9, 0xffff
	v_mad_u32_u24 v11, v5, 24, v18
	v_bfi_b32 v29, s9, v23, v9
	v_bfi_b32 v9, s9, v9, v23
	v_alignbit_b32 v23, v30, v28, 16
	v_pk_mul_f16 v15, v15, s0 op_sel_hi:[1,0]
	s_waitcnt lgkmcnt(0)
	; wave barrier
	s_waitcnt lgkmcnt(0)
	ds_write2_b32 v11, v9, v23 offset0:4 offset1:5
	v_pk_fma_f16 v9, v24, s1, v17 op_sel_hi:[1,0,1]
	v_pk_fma_f16 v7, v7, s4, v15 op_sel_hi:[1,0,1]
	v_pk_add_f16 v9, v9, v27
	v_pk_fma_f16 v7, v13, s8, v7 op_sel_hi:[1,0,1]
	v_pk_add_f16 v13, v9, v7 op_sel:[0,1] op_sel_hi:[1,0]
	v_pk_add_f16 v7, v9, v7 op_sel:[0,1] op_sel_hi:[1,0] neg_lo:[0,1] neg_hi:[0,1]
	v_alignbit_b32 v26, v28, v30, 16
	v_bfi_b32 v9, s9, v13, v7
	v_bfi_b32 v7, s9, v7, v13
	v_cmp_gt_u32_e64 s[0:1], 6, v5
	ds_write2_b32 v11, v26, v29 offset0:2 offset1:3
	ds_write2_b32 v11, v25, v9 offset1:1
	ds_write_b32 v11, v7 offset:24
	s_and_saveexec_b64 s[4:5], s[0:1]
	s_cbranch_execz .LBB0_14
; %bb.13:
	v_pk_add_f16 v7, v8, v22
	v_pk_add_f16 v11, v6, v10
	;; [unrolled: 1-line block ×5, first 2 shown]
	v_bfi_b32 v17, s9, v7, v9
	v_bfi_b32 v23, s9, v9, v11
	;; [unrolled: 1-line block ×4, first 2 shown]
	v_pk_add_f16 v8, v8, v22 neg_lo:[0,1] neg_hi:[0,1]
	v_pk_add_f16 v12, v12, v14 neg_lo:[0,1] neg_hi:[0,1]
	;; [unrolled: 1-line block ×4, first 2 shown]
	s_mov_b32 s1, 0x3a522b26
	v_alignbit_b32 v22, v8, v12, 16
	v_alignbit_b32 v24, v12, v6, 16
	v_pk_add_f16 v17, v17, v23 neg_lo:[0,1] neg_hi:[0,1]
	s_mov_b32 s0, 0x2b263a52
	v_pk_mul_f16 v9, v9, s1
	v_alignbit_b32 v10, v12, v8, 16
	v_alignbit_b32 v14, v6, v12, 16
	v_pk_add_f16 v22, v22, v24 neg_lo:[0,1] neg_hi:[0,1]
	s_mov_b32 s1, 0xb5743846
	v_pk_add_f16 v12, v12, v6
	v_pk_add_f16 v16, v16, v15
	v_pk_mul_f16 v23, v17, s0
	v_pk_fma_f16 v17, v17, s0, v9
	v_pk_add_f16 v10, v10, v14 neg_lo:[0,1] neg_hi:[0,1]
	s_mov_b32 s0, 0x3846b574
	v_pk_mul_f16 v22, v22, s1
	v_pk_add_f16 v12, v12, v8
	v_pk_mul_f16 v14, v10, s0
	v_pk_fma_f16 v10, v10, s0, v22
	v_pk_mul_f16 v24, v12, s8 op_sel_hi:[1,0]
	v_pk_fma_f16 v15, v15, s14, v16 op_sel_hi:[1,0,1]
	v_pk_add_f16 v10, v24, v10 op_sel:[1,0] op_sel_hi:[0,1]
	v_pk_add_f16 v17, v17, v15
	v_pk_add_f16 v7, v11, v7 neg_lo:[0,1] neg_hi:[0,1]
	v_bfi_b32 v11, s9, v23, v9
	v_pk_add_f16 v6, v6, v8 neg_lo:[0,1] neg_hi:[0,1]
	v_alignbit_b32 v8, v14, v22, 16
	v_alignbit_b32 v14, v22, v14, 16
	v_bfi_b32 v9, s9, v9, v23
	v_mul_i32_i24_e32 v13, 28, v19
	v_pk_add_f16 v24, v17, v10
	v_pk_add_f16 v10, v17, v10 neg_lo:[0,1] neg_hi:[0,1]
	v_pk_fma_f16 v11, v7, s6, v11 op_sel_hi:[1,0,1] neg_lo:[1,0,1] neg_hi:[1,0,1]
	v_pk_fma_f16 v8, v6, s7, v8 op_sel_hi:[1,0,1] neg_lo:[1,0,1] neg_hi:[1,0,1]
	;; [unrolled: 1-line block ×4, first 2 shown]
	v_add3_u32 v13, 0, v13, v20
	v_bfi_b32 v17, s9, v24, v10
	v_pk_fma_f16 v8, v12, s8, v8 op_sel_hi:[1,0,1]
	v_pk_add_f16 v11, v11, v15
	v_pk_fma_f16 v6, v12, s8, v6 op_sel_hi:[1,0,1]
	v_pk_add_f16 v7, v7, v15
	ds_write2_b32 v13, v16, v17 offset1:1
	v_pk_add_f16 v16, v11, v8 op_sel:[0,1] op_sel_hi:[1,0]
	v_pk_add_f16 v8, v11, v8 op_sel:[0,1] op_sel_hi:[1,0] neg_lo:[0,1] neg_hi:[0,1]
	v_pk_add_f16 v9, v7, v6 op_sel:[0,1] op_sel_hi:[1,0] neg_lo:[0,1] neg_hi:[0,1]
	v_pk_add_f16 v6, v7, v6 op_sel:[0,1] op_sel_hi:[1,0]
	v_bfi_b32 v11, s9, v16, v8
	v_bfi_b32 v7, s9, v9, v6
	ds_write2_b32 v13, v11, v7 offset0:2 offset1:3
	v_bfi_b32 v6, s9, v6, v9
	v_bfi_b32 v7, s9, v8, v16
	ds_write2_b32 v13, v6, v7 offset0:4 offset1:5
	v_bfi_b32 v6, s9, v10, v24
	ds_write_b32 v13, v6 offset:24
.LBB0_14:
	s_or_b64 exec, exec, s[4:5]
	v_add_u32_e32 v8, 42, v5
	v_mov_b32_e32 v9, 37
	v_mul_lo_u16_sdwa v6, v8, v9 dst_sel:DWORD dst_unused:UNUSED_PAD src0_sel:BYTE_0 src1_sel:DWORD
	v_sub_u16_sdwa v7, v8, v6 dst_sel:DWORD dst_unused:UNUSED_PAD src0_sel:DWORD src1_sel:BYTE_1
	v_lshrrev_b16_e32 v7, 1, v7
	v_and_b32_e32 v7, 0x7f, v7
	v_mul_lo_u16_sdwa v10, v19, v9 dst_sel:DWORD dst_unused:UNUSED_PAD src0_sel:BYTE_0 src1_sel:DWORD
	v_add_u16_sdwa v6, v7, v6 dst_sel:DWORD dst_unused:UNUSED_PAD src0_sel:DWORD src1_sel:BYTE_1
	v_lshrrev_b16_e32 v23, 2, v6
	v_sub_u16_sdwa v11, v19, v10 dst_sel:DWORD dst_unused:UNUSED_PAD src0_sel:DWORD src1_sel:BYTE_1
	v_mul_lo_u16_e32 v6, 7, v23
	v_lshrrev_b16_e32 v11, 1, v11
	v_mov_b32_e32 v22, 3
	v_sub_u16_e32 v24, v8, v6
	v_and_b32_e32 v11, 0x7f, v11
	v_lshlrev_b32_sdwa v6, v22, v24 dst_sel:DWORD dst_unused:UNUSED_PAD src0_sel:DWORD src1_sel:BYTE_0
	v_add_u16_sdwa v10, v11, v10 dst_sel:DWORD dst_unused:UNUSED_PAD src0_sel:DWORD src1_sel:BYTE_1
	v_mul_lo_u16_sdwa v9, v5, v9 dst_sel:DWORD dst_unused:UNUSED_PAD src0_sel:BYTE_0 src1_sel:DWORD
	s_waitcnt lgkmcnt(0)
	; wave barrier
	s_waitcnt lgkmcnt(0)
	global_load_dwordx2 v[6:7], v6, s[12:13]
	v_lshrrev_b16_e32 v25, 2, v10
	v_sub_u16_sdwa v12, v5, v9 dst_sel:DWORD dst_unused:UNUSED_PAD src0_sel:DWORD src1_sel:BYTE_1
	v_mul_lo_u16_e32 v10, 7, v25
	v_lshrrev_b16_e32 v12, 1, v12
	v_sub_u16_e32 v26, v19, v10
	v_and_b32_e32 v12, 0x7f, v12
	v_lshlrev_b32_sdwa v10, v22, v26 dst_sel:DWORD dst_unused:UNUSED_PAD src0_sel:DWORD src1_sel:BYTE_0
	v_add_u16_sdwa v9, v12, v9 dst_sel:DWORD dst_unused:UNUSED_PAD src0_sel:DWORD src1_sel:BYTE_1
	global_load_dwordx2 v[10:11], v10, s[12:13]
	v_lshrrev_b16_e32 v27, 2, v9
	v_mul_lo_u16_e32 v9, 7, v27
	v_sub_u16_e32 v28, v5, v9
	v_lshlrev_b32_sdwa v9, v22, v28 dst_sel:DWORD dst_unused:UNUSED_PAD src0_sel:DWORD src1_sel:BYTE_0
	global_load_dwordx2 v[12:13], v9, s[12:13]
	ds_read2_b32 v[14:15], v18 offset0:84 offset1:105
	ds_read2_b32 v[16:17], v18 offset0:126 offset1:147
	ds_read_b32 v29, v18 offset:672
	v_lshlrev_b32_e32 v9, 2, v19
	v_add3_u32 v9, 0, v9, v20
	s_waitcnt lgkmcnt(2)
	v_lshrrev_b32_e32 v32, 16, v15
	v_lshrrev_b32_e32 v34, 16, v14
	s_waitcnt lgkmcnt(0)
	v_lshrrev_b32_e32 v33, 16, v29
	ds_read_b32 v30, v9
	ds_read_b32 v31, v21
	s_movk_i32 s0, 0x54
	v_mov_b32_e32 v36, 2
	s_mov_b32 s4, 0xbaee
	s_movk_i32 s5, 0x3aee
	s_waitcnt vmcnt(2)
	v_mul_f16_sdwa v35, v33, v7 dst_sel:DWORD dst_unused:UNUSED_PAD src0_sel:DWORD src1_sel:WORD_1
	v_fma_f16 v35, v29, v7, v35
	v_mul_f16_sdwa v29, v29, v7 dst_sel:DWORD dst_unused:UNUSED_PAD src0_sel:DWORD src1_sel:WORD_1
	v_fma_f16 v29, v33, v7, -v29
	v_mul_f16_sdwa v7, v6, v15 dst_sel:DWORD dst_unused:UNUSED_PAD src0_sel:WORD_1 src1_sel:DWORD
	v_fma_f16 v33, v6, v32, -v7
	v_mul_f16_sdwa v7, v6, v32 dst_sel:DWORD dst_unused:UNUSED_PAD src0_sel:WORD_1 src1_sel:DWORD
	v_fma_f16 v15, v6, v15, v7
	v_lshrrev_b32_e32 v6, 16, v17
	s_waitcnt vmcnt(1)
	v_mul_f16_sdwa v7, v10, v34 dst_sel:DWORD dst_unused:UNUSED_PAD src0_sel:WORD_1 src1_sel:DWORD
	v_fma_f16 v32, v10, v14, v7
	v_mul_f16_sdwa v7, v10, v14 dst_sel:DWORD dst_unused:UNUSED_PAD src0_sel:WORD_1 src1_sel:DWORD
	v_fma_f16 v10, v10, v34, -v7
	v_mul_f16_sdwa v7, v11, v17 dst_sel:DWORD dst_unused:UNUSED_PAD src0_sel:WORD_1 src1_sel:DWORD
	v_lshrrev_b32_e32 v14, 16, v16
	v_fma_f16 v34, v11, v6, -v7
	v_mul_f16_sdwa v6, v11, v6 dst_sel:DWORD dst_unused:UNUSED_PAD src0_sel:WORD_1 src1_sel:DWORD
	v_fma_f16 v11, v11, v17, v6
	s_waitcnt vmcnt(0)
	v_mul_f16_sdwa v6, v13, v14 dst_sel:DWORD dst_unused:UNUSED_PAD src0_sel:WORD_1 src1_sel:DWORD
	v_mul_f16_sdwa v17, v13, v16 dst_sel:DWORD dst_unused:UNUSED_PAD src0_sel:WORD_1 src1_sel:DWORD
	v_fma_f16 v16, v13, v16, v6
	ds_read2_b32 v[6:7], v18 offset0:42 offset1:63
	v_fma_f16 v13, v13, v14, -v17
	s_waitcnt lgkmcnt(0)
	; wave barrier
	s_waitcnt lgkmcnt(0)
	v_lshrrev_b32_e32 v14, 16, v7
	v_mul_f16_sdwa v17, v12, v7 dst_sel:DWORD dst_unused:UNUSED_PAD src0_sel:WORD_1 src1_sel:DWORD
	v_fma_f16 v17, v12, v14, -v17
	v_mul_f16_sdwa v14, v12, v14 dst_sel:DWORD dst_unused:UNUSED_PAD src0_sel:WORD_1 src1_sel:DWORD
	v_fma_f16 v7, v12, v7, v14
	v_mad_u32_u24 v12, v27, s0, 0
	v_lshlrev_b32_sdwa v14, v36, v28 dst_sel:DWORD dst_unused:UNUSED_PAD src0_sel:DWORD src1_sel:BYTE_0
	v_add3_u32 v12, v12, v14, v20
	v_add_f16_e32 v14, v31, v7
	v_add_f16_e32 v27, v7, v16
	v_sub_f16_e32 v7, v7, v16
	v_add_f16_e32 v14, v14, v16
	v_fma_f16 v16, v27, -0.5, v31
	v_lshrrev_b32_e32 v27, 16, v31
	v_sub_f16_e32 v28, v17, v13
	v_add_f16_e32 v31, v27, v17
	v_add_f16_e32 v17, v17, v13
	;; [unrolled: 1-line block ×3, first 2 shown]
	v_fma_f16 v17, v17, -0.5, v27
	v_pack_b32_f16 v13, v14, v13
	v_fma_f16 v14, v28, s4, v16
	v_fma_f16 v27, v7, s5, v17
	v_pack_b32_f16 v14, v14, v27
	ds_write2_b32 v12, v13, v14 offset1:7
	v_fma_f16 v13, v28, s5, v16
	v_fma_f16 v7, v7, s4, v17
	v_pack_b32_f16 v7, v13, v7
	ds_write_b32 v12, v7 offset:56
	v_add_f16_e32 v7, v32, v11
	v_fma_f16 v7, v7, -0.5, v30
	v_sub_f16_e32 v12, v10, v34
	v_fma_f16 v13, v12, s4, v7
	v_fma_f16 v7, v12, s5, v7
	v_lshrrev_b32_e32 v12, 16, v30
	v_add_f16_e32 v14, v12, v10
	v_add_f16_e32 v10, v10, v34
	v_fma_f16 v10, v10, -0.5, v12
	v_add_f16_e32 v12, v30, v32
	v_add_f16_e32 v12, v12, v11
	v_sub_f16_e32 v11, v32, v11
	v_fma_f16 v16, v11, s5, v10
	v_fma_f16 v10, v11, s4, v10
	v_add_f16_e32 v11, v15, v35
	v_fma_f16 v11, v11, -0.5, v6
	v_lshrrev_b32_e32 v17, 16, v6
	v_sub_f16_e32 v27, v33, v29
	v_fma_f16 v28, v27, s4, v11
	v_fma_f16 v11, v27, s5, v11
	v_add_f16_e32 v27, v17, v33
	v_add_f16_e32 v27, v27, v29
	;; [unrolled: 1-line block ×4, first 2 shown]
	v_fma_f16 v17, v29, -0.5, v17
	v_sub_f16_e32 v15, v15, v35
	v_fma_f16 v29, v15, s5, v17
	v_fma_f16 v15, v15, s4, v17
	v_mad_u32_u24 v17, v25, s0, 0
	v_lshlrev_b32_sdwa v25, v36, v26 dst_sel:DWORD dst_unused:UNUSED_PAD src0_sel:DWORD src1_sel:BYTE_0
	v_add3_u32 v17, v17, v25, v20
	v_pack_b32_f16 v7, v7, v10
	v_add_f16_e32 v14, v14, v34
	v_add_f16_e32 v6, v6, v35
	ds_write_b32 v17, v7 offset:56
	v_mad_u32_u24 v7, v23, s0, 0
	v_lshlrev_b32_sdwa v10, v36, v24 dst_sel:DWORD dst_unused:UNUSED_PAD src0_sel:DWORD src1_sel:BYTE_0
	v_pack_b32_f16 v12, v12, v14
	v_pack_b32_f16 v13, v13, v16
	v_add3_u32 v7, v7, v10, v20
	v_pack_b32_f16 v6, v6, v27
	v_pack_b32_f16 v10, v28, v29
	ds_write2_b32 v17, v12, v13 offset1:7
	ds_write2_b32 v7, v6, v10 offset1:7
	v_pack_b32_f16 v6, v11, v15
	s_movk_i32 s0, 0x87
	ds_write_b32 v7, v6 offset:56
	v_mul_lo_u16_sdwa v6, v8, s0 dst_sel:DWORD dst_unused:UNUSED_PAD src0_sel:BYTE_0 src1_sel:DWORD
	v_sub_u16_sdwa v7, v8, v6 dst_sel:DWORD dst_unused:UNUSED_PAD src0_sel:DWORD src1_sel:BYTE_1
	v_lshrrev_b16_e32 v7, 1, v7
	v_and_b32_e32 v7, 0x7f, v7
	v_add_u16_sdwa v6, v7, v6 dst_sel:DWORD dst_unused:UNUSED_PAD src0_sel:DWORD src1_sel:BYTE_1
	v_lshrrev_b16_e32 v6, 4, v6
	v_and_b32_e32 v6, 15, v6
	v_mul_lo_u16_e32 v6, 21, v6
	v_sub_u16_e32 v23, v8, v6
	v_lshlrev_b32_sdwa v6, v22, v23 dst_sel:DWORD dst_unused:UNUSED_PAD src0_sel:DWORD src1_sel:BYTE_0
	s_waitcnt lgkmcnt(0)
	; wave barrier
	s_waitcnt lgkmcnt(0)
	global_load_dwordx2 v[10:11], v6, s[12:13] offset:56
	v_lshlrev_b32_e32 v6, 1, v5
	v_mov_b32_e32 v7, 0
	v_lshlrev_b64 v[12:13], 2, v[6:7]
	v_mov_b32_e32 v22, s13
	v_add_co_u32_e64 v12, s[0:1], s12, v12
	v_addc_co_u32_e64 v13, s[0:1], v22, v13, s[0:1]
	global_load_dwordx2 v[14:15], v[12:13], off offset:56
	ds_read_b32 v6, v18 offset:672
	ds_read2_b32 v[16:17], v18 offset0:84 offset1:105
	ds_read_b32 v24, v9
	ds_read_b32 v25, v21
	s_waitcnt lgkmcnt(3)
	v_lshrrev_b32_e32 v26, 16, v6
	s_waitcnt lgkmcnt(2)
	v_lshrrev_b32_e32 v27, 16, v17
	s_waitcnt vmcnt(1)
	v_mul_f16_sdwa v28, v26, v11 dst_sel:DWORD dst_unused:UNUSED_PAD src0_sel:DWORD src1_sel:WORD_1
	v_fma_f16 v28, v6, v11, v28
	v_mul_f16_sdwa v6, v6, v11 dst_sel:DWORD dst_unused:UNUSED_PAD src0_sel:DWORD src1_sel:WORD_1
	v_fma_f16 v6, v26, v11, -v6
	v_mul_f16_sdwa v11, v10, v17 dst_sel:DWORD dst_unused:UNUSED_PAD src0_sel:WORD_1 src1_sel:DWORD
	v_fma_f16 v26, v10, v27, -v11
	v_mul_f16_sdwa v11, v10, v27 dst_sel:DWORD dst_unused:UNUSED_PAD src0_sel:WORD_1 src1_sel:DWORD
	v_fma_f16 v17, v10, v17, v11
	ds_read2_b32 v[10:11], v18 offset0:126 offset1:147
	v_lshrrev_b32_e32 v27, 16, v16
	s_waitcnt vmcnt(0)
	v_mul_f16_sdwa v29, v14, v27 dst_sel:DWORD dst_unused:UNUSED_PAD src0_sel:WORD_1 src1_sel:DWORD
	v_fma_f16 v29, v14, v16, v29
	v_mul_f16_sdwa v16, v14, v16 dst_sel:DWORD dst_unused:UNUSED_PAD src0_sel:WORD_1 src1_sel:DWORD
	v_fma_f16 v16, v14, v27, -v16
	s_waitcnt lgkmcnt(0)
	v_lshrrev_b32_e32 v27, 16, v10
	v_mul_f16_sdwa v30, v15, v10 dst_sel:DWORD dst_unused:UNUSED_PAD src0_sel:WORD_1 src1_sel:DWORD
	v_fma_f16 v30, v15, v27, -v30
	v_mul_f16_sdwa v27, v15, v27 dst_sel:DWORD dst_unused:UNUSED_PAD src0_sel:WORD_1 src1_sel:DWORD
	v_lshrrev_b32_e32 v31, 16, v11
	v_fma_f16 v27, v15, v10, v27
	v_mul_f16_sdwa v10, v15, v31 dst_sel:DWORD dst_unused:UNUSED_PAD src0_sel:WORD_1 src1_sel:DWORD
	v_fma_f16 v32, v15, v11, v10
	v_mul_f16_sdwa v33, v15, v11 dst_sel:DWORD dst_unused:UNUSED_PAD src0_sel:WORD_1 src1_sel:DWORD
	ds_read2_b32 v[10:11], v18 offset0:42 offset1:63
	v_fma_f16 v15, v15, v31, -v33
	s_waitcnt lgkmcnt(0)
	; wave barrier
	s_waitcnt lgkmcnt(0)
	v_lshrrev_b32_e32 v31, 16, v11
	v_mul_f16_sdwa v33, v14, v11 dst_sel:DWORD dst_unused:UNUSED_PAD src0_sel:WORD_1 src1_sel:DWORD
	v_fma_f16 v33, v14, v31, -v33
	v_mul_f16_sdwa v31, v14, v31 dst_sel:DWORD dst_unused:UNUSED_PAD src0_sel:WORD_1 src1_sel:DWORD
	v_fma_f16 v11, v14, v11, v31
	v_lshrrev_b32_e32 v14, 16, v25
	v_add_f16_e32 v31, v14, v33
	v_add_f16_e32 v31, v31, v30
	v_sub_f16_e32 v34, v33, v30
	v_add_f16_e32 v30, v33, v30
	v_fma_f16 v14, v30, -0.5, v14
	v_add_f16_e32 v30, v11, v27
	v_fma_f16 v30, v30, -0.5, v25
	v_add_f16_e32 v25, v25, v11
	v_add_f16_e32 v25, v25, v27
	v_sub_f16_e32 v11, v11, v27
	v_pack_b32_f16 v25, v25, v31
	v_fma_f16 v27, v34, s4, v30
	v_fma_f16 v31, v11, s5, v14
	v_pack_b32_f16 v27, v27, v31
	ds_write2_b32 v18, v25, v27 offset1:21
	v_fma_f16 v25, v34, s5, v30
	v_fma_f16 v11, v11, s4, v14
	v_lshrrev_b32_e32 v14, 16, v24
	v_pack_b32_f16 v11, v25, v11
	v_add_f16_e32 v25, v14, v16
	v_add_f16_e32 v27, v24, v29
	;; [unrolled: 1-line block ×4, first 2 shown]
	v_pack_b32_f16 v25, v27, v25
	ds_write2_b32 v18, v11, v25 offset0:42 offset1:63
	v_add_f16_e32 v11, v29, v32
	v_fma_f16 v11, v11, -0.5, v24
	v_sub_f16_e32 v24, v16, v15
	v_add_f16_e32 v15, v16, v15
	v_fma_f16 v14, v15, -0.5, v14
	v_sub_f16_e32 v15, v29, v32
	v_fma_f16 v16, v15, s5, v14
	v_fma_f16 v14, v15, s4, v14
	v_add_f16_e32 v15, v17, v28
	v_fma_f16 v25, v24, s4, v11
	v_fma_f16 v11, v24, s5, v11
	v_fma_f16 v15, v15, -0.5, v10
	v_lshrrev_b32_e32 v24, 16, v10
	v_sub_f16_e32 v27, v26, v6
	v_fma_f16 v29, v27, s4, v15
	v_fma_f16 v15, v27, s5, v15
	v_add_f16_e32 v27, v24, v26
	v_add_f16_e32 v27, v27, v6
	;; [unrolled: 1-line block ×4, first 2 shown]
	v_fma_f16 v6, v6, -0.5, v24
	v_sub_f16_e32 v17, v17, v28
	v_pack_b32_f16 v16, v25, v16
	v_pack_b32_f16 v11, v11, v14
	v_add_f16_e32 v10, v10, v28
	v_fma_f16 v24, v17, s5, v6
	v_fma_f16 v6, v17, s4, v6
	ds_write2_b32 v18, v16, v11 offset0:84 offset1:105
	v_lshlrev_b32_sdwa v11, v36, v23 dst_sel:DWORD dst_unused:UNUSED_PAD src0_sel:DWORD src1_sel:BYTE_0
	v_add3_u32 v11, 0, v11, v20
	v_pack_b32_f16 v10, v10, v27
	v_pack_b32_f16 v14, v29, v24
	;; [unrolled: 1-line block ×3, first 2 shown]
	ds_write2_b32 v11, v10, v14 offset0:126 offset1:147
	ds_write_b32 v11, v6 offset:672
	s_waitcnt lgkmcnt(0)
	; wave barrier
	s_waitcnt lgkmcnt(0)
	global_load_dwordx2 v[10:11], v[12:13], off offset:224
	v_lshlrev_b32_e32 v6, 1, v19
	v_lshlrev_b64 v[12:13], 2, v[6:7]
	v_lshlrev_b32_e32 v6, 1, v8
	v_add_co_u32_e64 v12, s[0:1], s12, v12
	v_addc_co_u32_e64 v13, s[0:1], v22, v13, s[0:1]
	global_load_dwordx2 v[12:13], v[12:13], off offset:224
	v_lshlrev_b64 v[14:15], 2, v[6:7]
	v_add_co_u32_e64 v14, s[0:1], s12, v14
	v_addc_co_u32_e64 v15, s[0:1], v22, v15, s[0:1]
	global_load_dwordx2 v[14:15], v[14:15], off offset:224
	ds_read_b32 v6, v21
	ds_read2_b32 v[16:17], v18 offset0:42 offset1:63
	ds_read_b32 v8, v18 offset:672
	ds_read_b32 v23, v9
	ds_read2_b32 v[19:20], v18 offset0:126 offset1:147
	ds_read2_b32 v[21:22], v18 offset0:84 offset1:105
	s_waitcnt lgkmcnt(5)
	v_lshrrev_b32_e32 v24, 16, v6
	s_waitcnt lgkmcnt(4)
	v_lshrrev_b32_e32 v25, 16, v17
	s_waitcnt lgkmcnt(0)
	; wave barrier
	s_waitcnt lgkmcnt(0)
	v_lshrrev_b32_e32 v27, 16, v21
	s_waitcnt vmcnt(2)
	v_mul_f16_sdwa v26, v10, v25 dst_sel:DWORD dst_unused:UNUSED_PAD src0_sel:WORD_1 src1_sel:DWORD
	v_fma_f16 v26, v10, v17, v26
	v_mul_f16_sdwa v17, v10, v17 dst_sel:DWORD dst_unused:UNUSED_PAD src0_sel:WORD_1 src1_sel:DWORD
	v_fma_f16 v10, v10, v25, -v17
	v_lshrrev_b32_e32 v17, 16, v19
	v_mul_f16_sdwa v25, v11, v19 dst_sel:DWORD dst_unused:UNUSED_PAD src0_sel:WORD_1 src1_sel:DWORD
	v_fma_f16 v25, v11, v17, -v25
	v_mul_f16_sdwa v17, v11, v17 dst_sel:DWORD dst_unused:UNUSED_PAD src0_sel:WORD_1 src1_sel:DWORD
	v_fma_f16 v11, v11, v19, v17
	v_lshrrev_b32_e32 v17, 16, v20
	s_waitcnt vmcnt(1)
	v_mul_f16_sdwa v19, v13, v17 dst_sel:DWORD dst_unused:UNUSED_PAD src0_sel:WORD_1 src1_sel:DWORD
	v_fma_f16 v19, v13, v20, v19
	v_mul_f16_sdwa v20, v13, v20 dst_sel:DWORD dst_unused:UNUSED_PAD src0_sel:WORD_1 src1_sel:DWORD
	v_fma_f16 v13, v13, v17, -v20
	v_mul_f16_sdwa v17, v12, v21 dst_sel:DWORD dst_unused:UNUSED_PAD src0_sel:WORD_1 src1_sel:DWORD
	v_mul_f16_sdwa v20, v12, v27 dst_sel:DWORD dst_unused:UNUSED_PAD src0_sel:WORD_1 src1_sel:DWORD
	v_fma_f16 v17, v12, v27, -v17
	v_fma_f16 v12, v12, v21, v20
	v_lshrrev_b32_e32 v20, 16, v22
	s_waitcnt vmcnt(0)
	v_mul_f16_sdwa v21, v14, v20 dst_sel:DWORD dst_unused:UNUSED_PAD src0_sel:WORD_1 src1_sel:DWORD
	v_fma_f16 v21, v14, v22, v21
	v_mul_f16_sdwa v22, v14, v22 dst_sel:DWORD dst_unused:UNUSED_PAD src0_sel:WORD_1 src1_sel:DWORD
	v_lshrrev_b32_e32 v27, 16, v8
	v_fma_f16 v14, v14, v20, -v22
	v_mul_f16_sdwa v20, v27, v15 dst_sel:DWORD dst_unused:UNUSED_PAD src0_sel:DWORD src1_sel:WORD_1
	v_fma_f16 v20, v8, v15, v20
	v_mul_f16_sdwa v8, v8, v15 dst_sel:DWORD dst_unused:UNUSED_PAD src0_sel:DWORD src1_sel:WORD_1
	v_fma_f16 v8, v27, v15, -v8
	v_add_f16_e32 v15, v26, v11
	v_fma_f16 v15, v15, -0.5, v6
	v_sub_f16_e32 v22, v10, v25
	v_fma_f16 v27, v22, s4, v15
	v_fma_f16 v15, v22, s5, v15
	v_add_f16_e32 v22, v24, v10
	v_add_f16_e32 v10, v10, v25
	;; [unrolled: 1-line block ×4, first 2 shown]
	v_fma_f16 v10, v10, -0.5, v24
	v_sub_f16_e32 v11, v26, v11
	v_fma_f16 v24, v11, s5, v10
	v_fma_f16 v10, v11, s4, v10
	v_add_f16_e32 v11, v12, v19
	v_add_f16_e32 v22, v22, v25
	v_fma_f16 v11, v11, -0.5, v23
	v_sub_f16_e32 v25, v17, v13
	v_fma_f16 v26, v25, s4, v11
	v_fma_f16 v11, v25, s5, v11
	v_lshrrev_b32_e32 v25, 16, v23
	v_add_f16_e32 v28, v25, v17
	v_add_f16_e32 v28, v28, v13
	;; [unrolled: 1-line block ×3, first 2 shown]
	v_fma_f16 v13, v13, -0.5, v25
	v_add_f16_e32 v17, v23, v12
	v_sub_f16_e32 v12, v12, v19
	v_add_f16_e32 v17, v17, v19
	v_fma_f16 v19, v12, s5, v13
	v_fma_f16 v12, v12, s4, v13
	v_add_f16_e32 v13, v21, v20
	v_pack_b32_f16 v6, v6, v22
	v_fma_f16 v13, v13, -0.5, v16
	v_lshrrev_b32_e32 v23, 16, v16
	v_sub_f16_e32 v25, v14, v8
	ds_write_b32 v18, v6
	v_pack_b32_f16 v6, v27, v24
	v_fma_f16 v29, v25, s4, v13
	v_fma_f16 v13, v25, s5, v13
	v_add_f16_e32 v25, v23, v14
	ds_write_b32 v18, v6 offset:252
	v_pack_b32_f16 v6, v15, v10
	v_add_f16_e32 v16, v16, v21
	v_add_f16_e32 v25, v25, v8
	;; [unrolled: 1-line block ×3, first 2 shown]
	ds_write_b32 v18, v6 offset:504
	v_pack_b32_f16 v6, v17, v28
	v_pack_b32_f16 v10, v26, v19
	v_fma_f16 v8, v8, -0.5, v23
	v_add_f16_e32 v14, v16, v20
	v_sub_f16_e32 v16, v21, v20
	ds_write2_b32 v9, v6, v10 offset1:63
	v_pack_b32_f16 v6, v11, v12
	v_fma_f16 v20, v16, s5, v8
	ds_write_b32 v9, v6 offset:504
	v_pack_b32_f16 v6, v14, v25
	v_fma_f16 v8, v16, s4, v8
	ds_write_b32 v18, v6 offset:168
	v_pack_b32_f16 v6, v29, v20
	ds_write_b32 v18, v6 offset:420
	v_pack_b32_f16 v6, v13, v8
	ds_write_b32 v18, v6 offset:672
	s_waitcnt lgkmcnt(0)
	; wave barrier
	s_waitcnt lgkmcnt(0)
	s_and_saveexec_b64 s[0:1], vcc
	s_cbranch_execz .LBB0_16
; %bb.15:
	v_mul_lo_u32 v6, s3, v3
	v_mul_lo_u32 v8, s2, v4
	v_mad_u64_u32 v[3:4], s[0:1], s2, v3, 0
	v_lshl_add_u32 v10, v5, 2, v0
	v_mov_b32_e32 v0, s11
	v_add3_u32 v4, v4, v8, v6
	v_lshlrev_b64 v[3:4], 2, v[3:4]
	v_mov_b32_e32 v6, v7
	v_add_co_u32_e32 v3, vcc, s10, v3
	v_addc_co_u32_e32 v4, vcc, v0, v4, vcc
	v_lshlrev_b64 v[0:1], 2, v[1:2]
	ds_read2_b32 v[8:9], v10 offset1:21
	v_add_co_u32_e32 v11, vcc, v3, v0
	v_addc_co_u32_e32 v4, vcc, v4, v1, vcc
	v_lshlrev_b64 v[0:1], 2, v[5:6]
	v_add_u32_e32 v6, 21, v5
	v_add_co_u32_e32 v0, vcc, v11, v0
	v_addc_co_u32_e32 v1, vcc, v4, v1, vcc
	s_waitcnt lgkmcnt(0)
	global_store_dword v[0:1], v8, off
	v_lshlrev_b64 v[0:1], 2, v[6:7]
	v_add_u32_e32 v6, 42, v5
	v_add_co_u32_e32 v0, vcc, v11, v0
	v_addc_co_u32_e32 v1, vcc, v4, v1, vcc
	global_store_dword v[0:1], v9, off
	ds_read2_b32 v[0:1], v10 offset0:42 offset1:63
	v_lshlrev_b64 v[2:3], 2, v[6:7]
	v_add_u32_e32 v6, 63, v5
	v_add_co_u32_e32 v2, vcc, v11, v2
	v_addc_co_u32_e32 v3, vcc, v4, v3, vcc
	s_waitcnt lgkmcnt(0)
	global_store_dword v[2:3], v0, off
	v_lshlrev_b64 v[2:3], 2, v[6:7]
	v_add_u32_e32 v6, 0x54, v5
	v_add_co_u32_e32 v2, vcc, v11, v2
	v_addc_co_u32_e32 v3, vcc, v4, v3, vcc
	global_store_dword v[2:3], v1, off
	ds_read2_b32 v[0:1], v10 offset0:84 offset1:105
	v_lshlrev_b64 v[2:3], 2, v[6:7]
	v_add_u32_e32 v6, 0x69, v5
	v_add_co_u32_e32 v2, vcc, v11, v2
	v_addc_co_u32_e32 v3, vcc, v4, v3, vcc
	s_waitcnt lgkmcnt(0)
	global_store_dword v[2:3], v0, off
	v_lshlrev_b64 v[2:3], 2, v[6:7]
	v_add_u32_e32 v6, 0x7e, v5
	v_add_co_u32_e32 v2, vcc, v11, v2
	v_addc_co_u32_e32 v3, vcc, v4, v3, vcc
	global_store_dword v[2:3], v1, off
	ds_read2_b32 v[0:1], v10 offset0:126 offset1:147
	v_lshlrev_b64 v[2:3], 2, v[6:7]
	v_add_u32_e32 v6, 0x93, v5
	v_add_co_u32_e32 v2, vcc, v11, v2
	v_addc_co_u32_e32 v3, vcc, v4, v3, vcc
	s_waitcnt lgkmcnt(0)
	global_store_dword v[2:3], v0, off
	v_lshlrev_b64 v[2:3], 2, v[6:7]
	v_add_u32_e32 v6, 0xa8, v5
	v_add_co_u32_e32 v2, vcc, v11, v2
	v_addc_co_u32_e32 v3, vcc, v4, v3, vcc
	global_store_dword v[2:3], v1, off
	ds_read_b32 v2, v10 offset:672
	v_lshlrev_b64 v[0:1], 2, v[6:7]
	v_add_co_u32_e32 v0, vcc, v11, v0
	v_addc_co_u32_e32 v1, vcc, v4, v1, vcc
	s_waitcnt lgkmcnt(0)
	global_store_dword v[0:1], v2, off
.LBB0_16:
	s_endpgm
	.section	.rodata,"a",@progbits
	.p2align	6, 0x0
	.amdhsa_kernel fft_rtc_back_len189_factors_7_3_3_3_wgs_63_tpt_21_half_op_CI_CI_unitstride_sbrr_dirReg
		.amdhsa_group_segment_fixed_size 0
		.amdhsa_private_segment_fixed_size 0
		.amdhsa_kernarg_size 104
		.amdhsa_user_sgpr_count 6
		.amdhsa_user_sgpr_private_segment_buffer 1
		.amdhsa_user_sgpr_dispatch_ptr 0
		.amdhsa_user_sgpr_queue_ptr 0
		.amdhsa_user_sgpr_kernarg_segment_ptr 1
		.amdhsa_user_sgpr_dispatch_id 0
		.amdhsa_user_sgpr_flat_scratch_init 0
		.amdhsa_user_sgpr_private_segment_size 0
		.amdhsa_uses_dynamic_stack 0
		.amdhsa_system_sgpr_private_segment_wavefront_offset 0
		.amdhsa_system_sgpr_workgroup_id_x 1
		.amdhsa_system_sgpr_workgroup_id_y 0
		.amdhsa_system_sgpr_workgroup_id_z 0
		.amdhsa_system_sgpr_workgroup_info 0
		.amdhsa_system_vgpr_workitem_id 0
		.amdhsa_next_free_vgpr 37
		.amdhsa_next_free_sgpr 28
		.amdhsa_reserve_vcc 1
		.amdhsa_reserve_flat_scratch 0
		.amdhsa_float_round_mode_32 0
		.amdhsa_float_round_mode_16_64 0
		.amdhsa_float_denorm_mode_32 3
		.amdhsa_float_denorm_mode_16_64 3
		.amdhsa_dx10_clamp 1
		.amdhsa_ieee_mode 1
		.amdhsa_fp16_overflow 0
		.amdhsa_exception_fp_ieee_invalid_op 0
		.amdhsa_exception_fp_denorm_src 0
		.amdhsa_exception_fp_ieee_div_zero 0
		.amdhsa_exception_fp_ieee_overflow 0
		.amdhsa_exception_fp_ieee_underflow 0
		.amdhsa_exception_fp_ieee_inexact 0
		.amdhsa_exception_int_div_zero 0
	.end_amdhsa_kernel
	.text
.Lfunc_end0:
	.size	fft_rtc_back_len189_factors_7_3_3_3_wgs_63_tpt_21_half_op_CI_CI_unitstride_sbrr_dirReg, .Lfunc_end0-fft_rtc_back_len189_factors_7_3_3_3_wgs_63_tpt_21_half_op_CI_CI_unitstride_sbrr_dirReg
                                        ; -- End function
	.section	.AMDGPU.csdata,"",@progbits
; Kernel info:
; codeLenInByte = 5648
; NumSgprs: 32
; NumVgprs: 37
; ScratchSize: 0
; MemoryBound: 0
; FloatMode: 240
; IeeeMode: 1
; LDSByteSize: 0 bytes/workgroup (compile time only)
; SGPRBlocks: 3
; VGPRBlocks: 9
; NumSGPRsForWavesPerEU: 32
; NumVGPRsForWavesPerEU: 37
; Occupancy: 6
; WaveLimiterHint : 1
; COMPUTE_PGM_RSRC2:SCRATCH_EN: 0
; COMPUTE_PGM_RSRC2:USER_SGPR: 6
; COMPUTE_PGM_RSRC2:TRAP_HANDLER: 0
; COMPUTE_PGM_RSRC2:TGID_X_EN: 1
; COMPUTE_PGM_RSRC2:TGID_Y_EN: 0
; COMPUTE_PGM_RSRC2:TGID_Z_EN: 0
; COMPUTE_PGM_RSRC2:TIDIG_COMP_CNT: 0
	.type	__hip_cuid_83e8206eed186eb2,@object ; @__hip_cuid_83e8206eed186eb2
	.section	.bss,"aw",@nobits
	.globl	__hip_cuid_83e8206eed186eb2
__hip_cuid_83e8206eed186eb2:
	.byte	0                               ; 0x0
	.size	__hip_cuid_83e8206eed186eb2, 1

	.ident	"AMD clang version 19.0.0git (https://github.com/RadeonOpenCompute/llvm-project roc-6.4.0 25133 c7fe45cf4b819c5991fe208aaa96edf142730f1d)"
	.section	".note.GNU-stack","",@progbits
	.addrsig
	.addrsig_sym __hip_cuid_83e8206eed186eb2
	.amdgpu_metadata
---
amdhsa.kernels:
  - .args:
      - .actual_access:  read_only
        .address_space:  global
        .offset:         0
        .size:           8
        .value_kind:     global_buffer
      - .offset:         8
        .size:           8
        .value_kind:     by_value
      - .actual_access:  read_only
        .address_space:  global
        .offset:         16
        .size:           8
        .value_kind:     global_buffer
      - .actual_access:  read_only
        .address_space:  global
        .offset:         24
        .size:           8
        .value_kind:     global_buffer
      - .actual_access:  read_only
        .address_space:  global
        .offset:         32
        .size:           8
        .value_kind:     global_buffer
      - .offset:         40
        .size:           8
        .value_kind:     by_value
      - .actual_access:  read_only
        .address_space:  global
        .offset:         48
        .size:           8
        .value_kind:     global_buffer
      - .actual_access:  read_only
        .address_space:  global
        .offset:         56
        .size:           8
        .value_kind:     global_buffer
      - .offset:         64
        .size:           4
        .value_kind:     by_value
      - .actual_access:  read_only
        .address_space:  global
        .offset:         72
        .size:           8
        .value_kind:     global_buffer
      - .actual_access:  read_only
        .address_space:  global
        .offset:         80
        .size:           8
        .value_kind:     global_buffer
      - .actual_access:  read_only
        .address_space:  global
        .offset:         88
        .size:           8
        .value_kind:     global_buffer
      - .actual_access:  write_only
        .address_space:  global
        .offset:         96
        .size:           8
        .value_kind:     global_buffer
    .group_segment_fixed_size: 0
    .kernarg_segment_align: 8
    .kernarg_segment_size: 104
    .language:       OpenCL C
    .language_version:
      - 2
      - 0
    .max_flat_workgroup_size: 63
    .name:           fft_rtc_back_len189_factors_7_3_3_3_wgs_63_tpt_21_half_op_CI_CI_unitstride_sbrr_dirReg
    .private_segment_fixed_size: 0
    .sgpr_count:     32
    .sgpr_spill_count: 0
    .symbol:         fft_rtc_back_len189_factors_7_3_3_3_wgs_63_tpt_21_half_op_CI_CI_unitstride_sbrr_dirReg.kd
    .uniform_work_group_size: 1
    .uses_dynamic_stack: false
    .vgpr_count:     37
    .vgpr_spill_count: 0
    .wavefront_size: 64
amdhsa.target:   amdgcn-amd-amdhsa--gfx906
amdhsa.version:
  - 1
  - 2
...

	.end_amdgpu_metadata
